;; amdgpu-corpus repo=ROCm/rocFFT kind=compiled arch=gfx90a opt=O3
	.text
	.amdgcn_target "amdgcn-amd-amdhsa--gfx90a"
	.amdhsa_code_object_version 6
	.p2align	2                               ; -- Begin function _Z13load_callbackP15HIP_vector_typeIdLj2EEmPvS2_
	.type	_Z13load_callbackP15HIP_vector_typeIdLj2EEmPvS2_,@function
_Z13load_callbackP15HIP_vector_typeIdLj2EEmPvS2_: ; @_Z13load_callbackP15HIP_vector_typeIdLj2EEmPvS2_
; %bb.0:
	s_waitcnt vmcnt(0) expcnt(0) lgkmcnt(0)
	flat_load_dwordx4 v[4:7], v[4:5]
	v_lshlrev_b64 v[8:9], 4, v[2:3]
	v_add_co_u32_e32 v0, vcc, v0, v8
	v_addc_co_u32_e32 v1, vcc, v1, v9, vcc
	flat_load_dwordx4 v[0:3], v[0:1]
	s_waitcnt vmcnt(0) lgkmcnt(0)
	v_add_co_u32_e32 v4, vcc, v4, v8
	v_addc_co_u32_e32 v5, vcc, v5, v9, vcc
	flat_load_dwordx4 v[8:11], v[4:5]
	s_waitcnt vmcnt(0) lgkmcnt(0)
	v_mul_f64 v[4:5], v[2:3], v[10:11]
	v_mul_f64 v[10:11], v[0:1], v[10:11]
	v_fma_f64 v[0:1], v[0:1], v[8:9], -v[4:5]
	v_fmac_f64_e32 v[10:11], v[2:3], v[8:9]
	v_mul_f64 v[2:3], v[6:7], v[0:1]
	v_fma_f64 v[0:1], -v[6:7], v[10:11], v[2:3]
	v_fmac_f64_e32 v[2:3], v[6:7], v[10:11]
	s_setpc_b64 s[30:31]
.Lfunc_end0:
	.size	_Z13load_callbackP15HIP_vector_typeIdLj2EEmPvS2_, .Lfunc_end0-_Z13load_callbackP15HIP_vector_typeIdLj2EEmPvS2_
                                        ; -- End function
	.section	.AMDGPU.csdata,"",@progbits
; Function info:
; codeLenInByte = 112
; NumSgprs: 36
; NumVgprs: 12
; NumAgprs: 0
; TotalNumVgprs: 12
; ScratchSize: 0
; MemoryBound: 0
	.text
	.p2alignl 6, 3212836864
	.fill 256, 4, 3212836864
	.protected	load_callback_dev       ; @load_callback_dev
	.type	load_callback_dev,@object
	.data
	.globl	load_callback_dev
	.p2align	3, 0x0
load_callback_dev:
	.quad	_Z13load_callbackP15HIP_vector_typeIdLj2EEmPvS2_
	.size	load_callback_dev, 8

	.type	__hip_cuid_2684ed507ab97098,@object ; @__hip_cuid_2684ed507ab97098
	.section	.bss,"aw",@nobits
	.globl	__hip_cuid_2684ed507ab97098
__hip_cuid_2684ed507ab97098:
	.byte	0                               ; 0x0
	.size	__hip_cuid_2684ed507ab97098, 1

	.ident	"AMD clang version 19.0.0git (https://github.com/RadeonOpenCompute/llvm-project roc-6.4.0 25133 c7fe45cf4b819c5991fe208aaa96edf142730f1d)"
	.section	".note.GNU-stack","",@progbits
	.addrsig
	.addrsig_sym _Z13load_callbackP15HIP_vector_typeIdLj2EEmPvS2_
	.addrsig_sym load_callback_dev
	.addrsig_sym __hip_cuid_2684ed507ab97098
	.amdgpu_metadata
---
amdhsa.kernels:  []
amdhsa.target:   amdgcn-amd-amdhsa--gfx90a
amdhsa.version:
  - 1
  - 2
...

	.end_amdgpu_metadata
